;; amdgpu-corpus repo=ROCm/rocFFT kind=compiled arch=gfx906 opt=O3
	.text
	.amdgcn_target "amdgcn-amd-amdhsa--gfx906"
	.amdhsa_code_object_version 6
	.protected	fft_rtc_fwd_len784_factors_2_2_2_2_7_7_wgs_56_tpt_56_halfLds_sp_ip_CI_unitstride_sbrr_R2C_dirReg ; -- Begin function fft_rtc_fwd_len784_factors_2_2_2_2_7_7_wgs_56_tpt_56_halfLds_sp_ip_CI_unitstride_sbrr_R2C_dirReg
	.globl	fft_rtc_fwd_len784_factors_2_2_2_2_7_7_wgs_56_tpt_56_halfLds_sp_ip_CI_unitstride_sbrr_R2C_dirReg
	.p2align	8
	.type	fft_rtc_fwd_len784_factors_2_2_2_2_7_7_wgs_56_tpt_56_halfLds_sp_ip_CI_unitstride_sbrr_R2C_dirReg,@function
fft_rtc_fwd_len784_factors_2_2_2_2_7_7_wgs_56_tpt_56_halfLds_sp_ip_CI_unitstride_sbrr_R2C_dirReg: ; @fft_rtc_fwd_len784_factors_2_2_2_2_7_7_wgs_56_tpt_56_halfLds_sp_ip_CI_unitstride_sbrr_R2C_dirReg
; %bb.0:
	s_load_dwordx2 s[2:3], s[4:5], 0x50
	s_load_dwordx4 s[8:11], s[4:5], 0x0
	s_load_dwordx2 s[12:13], s[4:5], 0x18
	v_mul_u32_u24_e32 v1, 0x493, v0
	v_add_u32_sdwa v5, s6, v1 dst_sel:DWORD dst_unused:UNUSED_PAD src0_sel:DWORD src1_sel:WORD_1
	v_mov_b32_e32 v3, 0
	s_waitcnt lgkmcnt(0)
	v_cmp_lt_u64_e64 s[0:1], s[10:11], 2
	v_mov_b32_e32 v1, 0
	v_mov_b32_e32 v6, v3
	s_and_b64 vcc, exec, s[0:1]
	v_mov_b32_e32 v2, 0
	s_cbranch_vccnz .LBB0_8
; %bb.1:
	s_load_dwordx2 s[0:1], s[4:5], 0x10
	s_add_u32 s6, s12, 8
	s_addc_u32 s7, s13, 0
	v_mov_b32_e32 v1, 0
	v_mov_b32_e32 v2, 0
	s_waitcnt lgkmcnt(0)
	s_add_u32 s14, s0, 8
	s_addc_u32 s15, s1, 0
	s_mov_b64 s[16:17], 1
.LBB0_2:                                ; =>This Inner Loop Header: Depth=1
	s_load_dwordx2 s[18:19], s[14:15], 0x0
                                        ; implicit-def: $vgpr7_vgpr8
	s_waitcnt lgkmcnt(0)
	v_or_b32_e32 v4, s19, v6
	v_cmp_ne_u64_e32 vcc, 0, v[3:4]
	s_and_saveexec_b64 s[0:1], vcc
	s_xor_b64 s[20:21], exec, s[0:1]
	s_cbranch_execz .LBB0_4
; %bb.3:                                ;   in Loop: Header=BB0_2 Depth=1
	v_cvt_f32_u32_e32 v4, s18
	v_cvt_f32_u32_e32 v7, s19
	s_sub_u32 s0, 0, s18
	s_subb_u32 s1, 0, s19
	v_mac_f32_e32 v4, 0x4f800000, v7
	v_rcp_f32_e32 v4, v4
	v_mul_f32_e32 v4, 0x5f7ffffc, v4
	v_mul_f32_e32 v7, 0x2f800000, v4
	v_trunc_f32_e32 v7, v7
	v_mac_f32_e32 v4, 0xcf800000, v7
	v_cvt_u32_f32_e32 v7, v7
	v_cvt_u32_f32_e32 v4, v4
	v_mul_lo_u32 v8, s0, v7
	v_mul_hi_u32 v9, s0, v4
	v_mul_lo_u32 v11, s1, v4
	v_mul_lo_u32 v10, s0, v4
	v_add_u32_e32 v8, v9, v8
	v_add_u32_e32 v8, v8, v11
	v_mul_hi_u32 v9, v4, v10
	v_mul_lo_u32 v11, v4, v8
	v_mul_hi_u32 v13, v4, v8
	v_mul_hi_u32 v12, v7, v10
	v_mul_lo_u32 v10, v7, v10
	v_mul_hi_u32 v14, v7, v8
	v_add_co_u32_e32 v9, vcc, v9, v11
	v_addc_co_u32_e32 v11, vcc, 0, v13, vcc
	v_mul_lo_u32 v8, v7, v8
	v_add_co_u32_e32 v9, vcc, v9, v10
	v_addc_co_u32_e32 v9, vcc, v11, v12, vcc
	v_addc_co_u32_e32 v10, vcc, 0, v14, vcc
	v_add_co_u32_e32 v8, vcc, v9, v8
	v_addc_co_u32_e32 v9, vcc, 0, v10, vcc
	v_add_co_u32_e32 v4, vcc, v4, v8
	v_addc_co_u32_e32 v7, vcc, v7, v9, vcc
	v_mul_lo_u32 v8, s0, v7
	v_mul_hi_u32 v9, s0, v4
	v_mul_lo_u32 v10, s1, v4
	v_mul_lo_u32 v11, s0, v4
	v_add_u32_e32 v8, v9, v8
	v_add_u32_e32 v8, v8, v10
	v_mul_lo_u32 v12, v4, v8
	v_mul_hi_u32 v13, v4, v11
	v_mul_hi_u32 v14, v4, v8
	;; [unrolled: 1-line block ×3, first 2 shown]
	v_mul_lo_u32 v11, v7, v11
	v_mul_hi_u32 v9, v7, v8
	v_add_co_u32_e32 v12, vcc, v13, v12
	v_addc_co_u32_e32 v13, vcc, 0, v14, vcc
	v_mul_lo_u32 v8, v7, v8
	v_add_co_u32_e32 v11, vcc, v12, v11
	v_addc_co_u32_e32 v10, vcc, v13, v10, vcc
	v_addc_co_u32_e32 v9, vcc, 0, v9, vcc
	v_add_co_u32_e32 v8, vcc, v10, v8
	v_addc_co_u32_e32 v9, vcc, 0, v9, vcc
	v_add_co_u32_e32 v4, vcc, v4, v8
	v_addc_co_u32_e32 v9, vcc, v7, v9, vcc
	v_mad_u64_u32 v[7:8], s[0:1], v5, v9, 0
	v_mul_hi_u32 v10, v5, v4
	v_add_co_u32_e32 v11, vcc, v10, v7
	v_addc_co_u32_e32 v12, vcc, 0, v8, vcc
	v_mad_u64_u32 v[7:8], s[0:1], v6, v4, 0
	v_mad_u64_u32 v[9:10], s[0:1], v6, v9, 0
	v_add_co_u32_e32 v4, vcc, v11, v7
	v_addc_co_u32_e32 v4, vcc, v12, v8, vcc
	v_addc_co_u32_e32 v7, vcc, 0, v10, vcc
	v_add_co_u32_e32 v4, vcc, v4, v9
	v_addc_co_u32_e32 v9, vcc, 0, v7, vcc
	v_mul_lo_u32 v10, s19, v4
	v_mul_lo_u32 v11, s18, v9
	v_mad_u64_u32 v[7:8], s[0:1], s18, v4, 0
	v_add3_u32 v8, v8, v11, v10
	v_sub_u32_e32 v10, v6, v8
	v_mov_b32_e32 v11, s19
	v_sub_co_u32_e32 v7, vcc, v5, v7
	v_subb_co_u32_e64 v10, s[0:1], v10, v11, vcc
	v_subrev_co_u32_e64 v11, s[0:1], s18, v7
	v_subbrev_co_u32_e64 v10, s[0:1], 0, v10, s[0:1]
	v_cmp_le_u32_e64 s[0:1], s19, v10
	v_cndmask_b32_e64 v12, 0, -1, s[0:1]
	v_cmp_le_u32_e64 s[0:1], s18, v11
	v_cndmask_b32_e64 v11, 0, -1, s[0:1]
	v_cmp_eq_u32_e64 s[0:1], s19, v10
	v_cndmask_b32_e64 v10, v12, v11, s[0:1]
	v_add_co_u32_e64 v11, s[0:1], 2, v4
	v_addc_co_u32_e64 v12, s[0:1], 0, v9, s[0:1]
	v_add_co_u32_e64 v13, s[0:1], 1, v4
	v_addc_co_u32_e64 v14, s[0:1], 0, v9, s[0:1]
	v_subb_co_u32_e32 v8, vcc, v6, v8, vcc
	v_cmp_ne_u32_e64 s[0:1], 0, v10
	v_cmp_le_u32_e32 vcc, s19, v8
	v_cndmask_b32_e64 v10, v14, v12, s[0:1]
	v_cndmask_b32_e64 v12, 0, -1, vcc
	v_cmp_le_u32_e32 vcc, s18, v7
	v_cndmask_b32_e64 v7, 0, -1, vcc
	v_cmp_eq_u32_e32 vcc, s19, v8
	v_cndmask_b32_e32 v7, v12, v7, vcc
	v_cmp_ne_u32_e32 vcc, 0, v7
	v_cndmask_b32_e64 v7, v13, v11, s[0:1]
	v_cndmask_b32_e32 v8, v9, v10, vcc
	v_cndmask_b32_e32 v7, v4, v7, vcc
.LBB0_4:                                ;   in Loop: Header=BB0_2 Depth=1
	s_andn2_saveexec_b64 s[0:1], s[20:21]
	s_cbranch_execz .LBB0_6
; %bb.5:                                ;   in Loop: Header=BB0_2 Depth=1
	v_cvt_f32_u32_e32 v4, s18
	s_sub_i32 s20, 0, s18
	v_rcp_iflag_f32_e32 v4, v4
	v_mul_f32_e32 v4, 0x4f7ffffe, v4
	v_cvt_u32_f32_e32 v4, v4
	v_mul_lo_u32 v7, s20, v4
	v_mul_hi_u32 v7, v4, v7
	v_add_u32_e32 v4, v4, v7
	v_mul_hi_u32 v4, v5, v4
	v_mul_lo_u32 v7, v4, s18
	v_add_u32_e32 v8, 1, v4
	v_sub_u32_e32 v7, v5, v7
	v_subrev_u32_e32 v9, s18, v7
	v_cmp_le_u32_e32 vcc, s18, v7
	v_cndmask_b32_e32 v7, v7, v9, vcc
	v_cndmask_b32_e32 v4, v4, v8, vcc
	v_add_u32_e32 v8, 1, v4
	v_cmp_le_u32_e32 vcc, s18, v7
	v_cndmask_b32_e32 v7, v4, v8, vcc
	v_mov_b32_e32 v8, v3
.LBB0_6:                                ;   in Loop: Header=BB0_2 Depth=1
	s_or_b64 exec, exec, s[0:1]
	v_mul_lo_u32 v4, v8, s18
	v_mul_lo_u32 v11, v7, s19
	v_mad_u64_u32 v[9:10], s[0:1], v7, s18, 0
	s_load_dwordx2 s[0:1], s[6:7], 0x0
	s_add_u32 s16, s16, 1
	v_add3_u32 v4, v10, v11, v4
	v_sub_co_u32_e32 v5, vcc, v5, v9
	v_subb_co_u32_e32 v4, vcc, v6, v4, vcc
	s_waitcnt lgkmcnt(0)
	v_mul_lo_u32 v4, s0, v4
	v_mul_lo_u32 v6, s1, v5
	v_mad_u64_u32 v[1:2], s[0:1], s0, v5, v[1:2]
	s_addc_u32 s17, s17, 0
	s_add_u32 s6, s6, 8
	v_add3_u32 v2, v6, v2, v4
	v_mov_b32_e32 v4, s10
	v_mov_b32_e32 v5, s11
	s_addc_u32 s7, s7, 0
	v_cmp_ge_u64_e32 vcc, s[16:17], v[4:5]
	s_add_u32 s14, s14, 8
	s_addc_u32 s15, s15, 0
	s_cbranch_vccnz .LBB0_9
; %bb.7:                                ;   in Loop: Header=BB0_2 Depth=1
	v_mov_b32_e32 v5, v7
	v_mov_b32_e32 v6, v8
	s_branch .LBB0_2
.LBB0_8:
	v_mov_b32_e32 v8, v6
	v_mov_b32_e32 v7, v5
.LBB0_9:
	s_lshl_b64 s[0:1], s[10:11], 3
	s_add_u32 s0, s12, s0
	s_addc_u32 s1, s13, s1
	s_load_dwordx2 s[6:7], s[0:1], 0x0
	s_load_dwordx2 s[10:11], s[4:5], 0x20
                                        ; implicit-def: $vgpr12
                                        ; implicit-def: $vgpr11
                                        ; implicit-def: $vgpr10
	s_waitcnt lgkmcnt(0)
	v_mad_u64_u32 v[3:4], s[0:1], s6, v7, v[1:2]
	s_mov_b32 s0, 0x4924925
	v_mul_hi_u32 v1, v0, s0
	v_mul_lo_u32 v5, s6, v8
	v_mul_lo_u32 v6, s7, v7
	v_cmp_gt_u64_e64 s[0:1], s[10:11], v[7:8]
	v_mul_u32_u24_e32 v1, 56, v1
	v_cmp_le_u64_e32 vcc, s[10:11], v[7:8]
	v_sub_u32_e32 v0, v0, v1
	v_add3_u32 v4, v6, v4, v5
	v_add_u32_e32 v2, 56, v0
                                        ; implicit-def: $vgpr6
                                        ; implicit-def: $vgpr8
	s_and_saveexec_b64 s[4:5], vcc
	s_xor_b64 s[4:5], exec, s[4:5]
; %bb.10:
	v_add_u32_e32 v2, 56, v0
	v_add_u32_e32 v12, 0x70, v0
	;; [unrolled: 1-line block ×6, first 2 shown]
; %bb.11:
	s_or_saveexec_b64 s[4:5], s[4:5]
	v_lshlrev_b64 v[4:5], 3, v[3:4]
	s_xor_b64 exec, exec, s[4:5]
	s_cbranch_execz .LBB0_13
; %bb.12:
	v_mov_b32_e32 v1, 0
	v_mov_b32_e32 v3, s3
	v_add_co_u32_e32 v8, vcc, s2, v4
	v_lshlrev_b64 v[6:7], 3, v[0:1]
	v_addc_co_u32_e32 v3, vcc, v3, v5, vcc
	v_add_co_u32_e32 v6, vcc, v8, v6
	v_addc_co_u32_e32 v7, vcc, v3, v7, vcc
	v_add_co_u32_e32 v8, vcc, 0x1000, v6
	global_load_dwordx2 v[13:14], v[6:7], off
	global_load_dwordx2 v[15:16], v[6:7], off offset:448
	global_load_dwordx2 v[17:18], v[6:7], off offset:896
	;; [unrolled: 1-line block ×7, first 2 shown]
	v_addc_co_u32_e32 v9, vcc, 0, v7, vcc
	global_load_dwordx2 v[29:30], v[6:7], off offset:3584
	global_load_dwordx2 v[31:32], v[6:7], off offset:4032
	;; [unrolled: 1-line block ×6, first 2 shown]
	v_lshl_add_u32 v1, v0, 3, 0
	v_add_u32_e32 v12, 0x70, v0
	v_add_u32_e32 v11, 0xa8, v0
	;; [unrolled: 1-line block ×8, first 2 shown]
	s_waitcnt vmcnt(12)
	ds_write2_b64 v1, v[13:14], v[15:16] offset1:56
	s_waitcnt vmcnt(8)
	ds_write2_b64 v3, v[21:22], v[23:24] offset0:96 offset1:152
	ds_write2_b64 v1, v[17:18], v[19:20] offset0:112 offset1:168
	s_waitcnt vmcnt(6)
	ds_write2_b64 v7, v[25:26], v[27:28] offset0:80 offset1:136
	s_waitcnt vmcnt(4)
	;; [unrolled: 2-line block ×4, first 2 shown]
	ds_write2_b64 v9, v[37:38], v[39:40] offset0:160 offset1:216
.LBB0_13:
	s_or_b64 exec, exec, s[4:5]
	v_lshlrev_b32_e32 v1, 3, v0
	v_add_u32_e32 v19, 0, v1
	v_add_u32_e32 v17, 0x800, v19
	s_waitcnt lgkmcnt(0)
	; wave barrier
	s_waitcnt lgkmcnt(0)
	ds_read2_b64 v[20:23], v19 offset1:56
	ds_read2_b64 v[13:16], v17 offset0:80 offset1:136
	v_add_u32_e32 v29, 0x1000, v19
	v_add_u32_e32 v3, v19, v1
	v_and_b32_e32 v61, 1, v0
	v_lshl_add_u32 v7, v12, 4, 0
	s_waitcnt lgkmcnt(0)
	v_sub_f32_e32 v46, v20, v15
	v_add_u32_e32 v15, 0x400, v19
	ds_read2_b64 v[24:27], v17 offset0:192 offset1:248
	ds_read2_b64 v[30:33], v19 offset0:112 offset1:168
	;; [unrolled: 1-line block ×5, first 2 shown]
	v_sub_f32_e32 v47, v21, v16
	v_fma_f32 v20, v20, 2.0, -v46
	v_fma_f32 v21, v21, 2.0, -v47
	s_waitcnt lgkmcnt(0)
	; wave barrier
	s_waitcnt lgkmcnt(0)
	ds_write2_b64 v3, v[20:21], v[46:47] offset1:1
	v_sub_f32_e32 v20, v22, v24
	v_sub_f32_e32 v21, v23, v25
	v_fma_f32 v24, v22, 2.0, -v20
	v_fma_f32 v25, v23, 2.0, -v21
	v_sub_f32_e32 v26, v30, v26
	v_sub_f32_e32 v27, v31, v27
	;; [unrolled: 1-line block ×10, first 2 shown]
	v_lshl_add_u32 v23, v2, 4, 0
	v_fma_f32 v30, v30, 2.0, -v26
	v_fma_f32 v31, v31, 2.0, -v27
	;; [unrolled: 1-line block ×10, first 2 shown]
	ds_write2_b64 v23, v[24:25], v[20:21] offset1:1
	v_lshl_add_u32 v9, v11, 4, 0
	v_lshl_add_u32 v22, v6, 4, 0
	;; [unrolled: 1-line block ×4, first 2 shown]
	v_lshlrev_b32_e32 v3, 3, v61
	ds_write2_b64 v7, v[30:31], v[26:27] offset1:1
	ds_write2_b64 v9, v[32:33], v[34:35] offset1:1
	;; [unrolled: 1-line block ×5, first 2 shown]
	s_waitcnt lgkmcnt(0)
	; wave barrier
	s_waitcnt lgkmcnt(0)
	global_load_dwordx2 v[13:14], v3, s[8:9]
	v_lshlrev_b32_e32 v3, 3, v12
	v_lshlrev_b32_e32 v28, 3, v2
	;; [unrolled: 1-line block ×6, first 2 shown]
	v_sub_u32_e32 v30, v7, v3
	v_sub_u32_e32 v16, v23, v28
	;; [unrolled: 1-line block ×6, first 2 shown]
	v_add_u32_e32 v18, 0xc00, v19
	ds_read2_b64 v[33:36], v17 offset0:136 offset1:192
	ds_read_b64 v[41:42], v19
	ds_read_b64 v[45:46], v19 offset:5824
	ds_read_b64 v[47:48], v30
	ds_read_b64 v[49:50], v16
	;; [unrolled: 1-line block ×6, first 2 shown]
	ds_read2_b64 v[37:40], v18 offset0:120 offset1:176
	s_movk_i32 s4, 0x7c
	v_lshlrev_b32_e32 v64, 1, v0
	v_and_or_b32 v65, v64, s4, v61
	v_lshl_add_u32 v65, v65, 3, 0
	s_movk_i32 s4, 0xfc
	v_lshlrev_b32_e32 v66, 1, v12
	v_lshlrev_b32_e32 v67, 1, v11
	;; [unrolled: 1-line block ×3, first 2 shown]
	s_movk_i32 s5, 0x2fc
	v_lshlrev_b32_e32 v69, 1, v8
	v_lshlrev_b32_e32 v70, 1, v10
	s_movk_i32 s10, 0x70
	s_mov_b32 s6, 0xbeae86e6
	s_mov_b32 s7, 0x3f3bfb3b
	s_waitcnt vmcnt(0) lgkmcnt(9)
	v_mul_f32_e32 v43, v14, v34
	v_mul_f32_e32 v44, v14, v33
	v_fma_f32 v33, v13, v33, -v43
	v_fmac_f32_e32 v44, v13, v34
	s_waitcnt lgkmcnt(8)
	v_sub_f32_e32 v33, v41, v33
	v_sub_f32_e32 v34, v42, v44
	v_fma_f32 v59, v41, 2.0, -v33
	v_fma_f32 v60, v42, 2.0, -v34
	ds_read2_b64 v[41:44], v29 offset0:104 offset1:160
	s_waitcnt lgkmcnt(0)
	; wave barrier
	s_waitcnt lgkmcnt(0)
	ds_write2_b64 v65, v[59:60], v[33:34] offset1:2
	v_mul_f32_e32 v33, v14, v36
	v_fma_f32 v33, v13, v35, -v33
	v_mul_f32_e32 v34, v14, v35
	v_fmac_f32_e32 v34, v13, v36
	v_sub_f32_e32 v33, v49, v33
	v_lshlrev_b32_e32 v65, 1, v2
	v_sub_f32_e32 v34, v50, v34
	v_fma_f32 v35, v49, 2.0, -v33
	v_and_or_b32 v49, v65, s4, v61
	v_fma_f32 v36, v50, 2.0, -v34
	v_lshl_add_u32 v49, v49, 3, 0
	ds_write2_b64 v49, v[35:36], v[33:34] offset1:2
	v_mul_f32_e32 v33, v14, v38
	v_mul_f32_e32 v34, v14, v37
	v_fma_f32 v33, v13, v37, -v33
	v_fmac_f32_e32 v34, v13, v38
	s_movk_i32 s4, 0x1fc
	v_sub_f32_e32 v33, v47, v33
	v_sub_f32_e32 v34, v48, v34
	v_and_or_b32 v37, v66, s4, v61
	v_fma_f32 v35, v47, 2.0, -v33
	v_fma_f32 v36, v48, 2.0, -v34
	v_lshl_add_u32 v37, v37, 3, 0
	ds_write2_b64 v37, v[35:36], v[33:34] offset1:2
	v_mul_f32_e32 v33, v14, v40
	v_mul_f32_e32 v34, v14, v39
	v_fma_f32 v33, v13, v39, -v33
	v_fmac_f32_e32 v34, v13, v40
	v_sub_f32_e32 v33, v51, v33
	v_sub_f32_e32 v34, v52, v34
	v_and_or_b32 v37, v67, s4, v61
	v_fma_f32 v35, v51, 2.0, -v33
	v_fma_f32 v36, v52, 2.0, -v34
	v_lshl_add_u32 v37, v37, 3, 0
	ds_write2_b64 v37, v[35:36], v[33:34] offset1:2
	v_mul_f32_e32 v33, v14, v42
	v_mul_f32_e32 v34, v14, v41
	v_fma_f32 v33, v13, v41, -v33
	v_fmac_f32_e32 v34, v13, v42
	s_movk_i32 s4, 0x3fc
	v_sub_f32_e32 v33, v53, v33
	v_sub_f32_e32 v34, v54, v34
	v_and_or_b32 v37, v68, s4, v61
	v_fma_f32 v35, v53, 2.0, -v33
	v_fma_f32 v36, v54, 2.0, -v34
	v_lshl_add_u32 v37, v37, 3, 0
	ds_write2_b64 v37, v[35:36], v[33:34] offset1:2
	v_mul_f32_e32 v33, v14, v44
	v_mul_f32_e32 v34, v14, v43
	v_fma_f32 v33, v13, v43, -v33
	v_fmac_f32_e32 v34, v13, v44
	v_sub_f32_e32 v33, v55, v33
	v_sub_f32_e32 v34, v56, v34
	v_and_or_b32 v37, v69, s5, v61
	v_fma_f32 v35, v55, 2.0, -v33
	v_fma_f32 v36, v56, 2.0, -v34
	v_lshl_add_u32 v37, v37, 3, 0
	ds_write2_b64 v37, v[35:36], v[33:34] offset1:2
	v_mul_f32_e32 v33, v14, v46
	v_mul_f32_e32 v34, v13, v46
	v_fma_f32 v33, v13, v45, -v33
	v_fmac_f32_e32 v34, v14, v45
	v_sub_f32_e32 v13, v57, v33
	v_sub_f32_e32 v14, v58, v34
	v_and_or_b32 v35, v70, s4, v61
	v_fma_f32 v33, v57, 2.0, -v13
	v_fma_f32 v34, v58, 2.0, -v14
	v_lshl_add_u32 v35, v35, 3, 0
	v_and_b32_e32 v61, 3, v0
	ds_write2_b64 v35, v[33:34], v[13:14] offset1:2
	v_lshlrev_b32_e32 v13, 3, v61
	s_waitcnt lgkmcnt(0)
	; wave barrier
	s_waitcnt lgkmcnt(0)
	global_load_dwordx2 v[13:14], v13, s[8:9] offset:16
	ds_read2_b64 v[33:36], v17 offset0:136 offset1:192
	s_movk_i32 s4, 0x78
	v_and_or_b32 v71, v64, s4, v61
	v_lshl_add_u32 v71, v71, 3, 0
	s_movk_i32 s4, 0xf8
	s_movk_i32 s5, 0x2f8
	s_waitcnt vmcnt(0) lgkmcnt(0)
	v_mul_f32_e32 v37, v14, v34
	v_fma_f32 v39, v13, v33, -v37
	ds_read_b64 v[37:38], v19
	v_mul_f32_e32 v40, v14, v33
	v_fmac_f32_e32 v40, v13, v34
	ds_read_b64 v[33:34], v19 offset:5824
	ds_read_b64 v[45:46], v30
	ds_read_b64 v[47:48], v16
	s_waitcnt lgkmcnt(3)
	v_sub_f32_e32 v49, v37, v39
	v_sub_f32_e32 v50, v38, v40
	v_fma_f32 v51, v37, 2.0, -v49
	v_fma_f32 v52, v38, 2.0, -v50
	ds_read_b64 v[53:54], v62
	ds_read_b64 v[55:56], v31
	;; [unrolled: 1-line block ×4, first 2 shown]
	ds_read2_b64 v[37:40], v18 offset0:120 offset1:176
	ds_read2_b64 v[41:44], v29 offset0:104 offset1:160
	s_waitcnt lgkmcnt(0)
	; wave barrier
	s_waitcnt lgkmcnt(0)
	ds_write2_b64 v71, v[51:52], v[49:50] offset1:4
	v_mul_f32_e32 v49, v14, v36
	v_mul_f32_e32 v50, v14, v35
	v_fma_f32 v49, v13, v35, -v49
	v_fmac_f32_e32 v50, v13, v36
	v_sub_f32_e32 v35, v47, v49
	v_sub_f32_e32 v36, v48, v50
	v_and_or_b32 v49, v65, s4, v61
	v_fma_f32 v47, v47, 2.0, -v35
	v_fma_f32 v48, v48, 2.0, -v36
	v_lshl_add_u32 v49, v49, 3, 0
	ds_write2_b64 v49, v[47:48], v[35:36] offset1:4
	v_mul_f32_e32 v35, v14, v38
	v_fma_f32 v35, v13, v37, -v35
	v_mul_f32_e32 v36, v14, v37
	v_fmac_f32_e32 v36, v13, v38
	v_sub_f32_e32 v35, v45, v35
	s_movk_i32 s4, 0x1f8
	v_sub_f32_e32 v36, v46, v36
	v_fma_f32 v37, v45, 2.0, -v35
	v_and_or_b32 v45, v66, s4, v61
	v_fma_f32 v38, v46, 2.0, -v36
	v_lshl_add_u32 v45, v45, 3, 0
	ds_write2_b64 v45, v[37:38], v[35:36] offset1:4
	v_mul_f32_e32 v35, v14, v40
	v_mul_f32_e32 v36, v14, v39
	v_fma_f32 v35, v13, v39, -v35
	v_fmac_f32_e32 v36, v13, v40
	v_sub_f32_e32 v35, v53, v35
	v_sub_f32_e32 v36, v54, v36
	v_and_or_b32 v39, v67, s4, v61
	v_fma_f32 v37, v53, 2.0, -v35
	v_fma_f32 v38, v54, 2.0, -v36
	v_lshl_add_u32 v39, v39, 3, 0
	ds_write2_b64 v39, v[37:38], v[35:36] offset1:4
	v_mul_f32_e32 v35, v14, v42
	v_mul_f32_e32 v36, v14, v41
	v_fma_f32 v35, v13, v41, -v35
	v_fmac_f32_e32 v36, v13, v42
	s_movk_i32 s4, 0x3f8
	v_sub_f32_e32 v35, v55, v35
	v_sub_f32_e32 v36, v56, v36
	v_and_or_b32 v39, v68, s4, v61
	v_fma_f32 v37, v55, 2.0, -v35
	v_fma_f32 v38, v56, 2.0, -v36
	v_lshl_add_u32 v39, v39, 3, 0
	ds_write2_b64 v39, v[37:38], v[35:36] offset1:4
	v_mul_f32_e32 v35, v14, v44
	v_mul_f32_e32 v36, v14, v43
	v_fma_f32 v35, v13, v43, -v35
	v_fmac_f32_e32 v36, v13, v44
	v_sub_f32_e32 v35, v57, v35
	v_sub_f32_e32 v36, v58, v36
	v_and_or_b32 v39, v69, s5, v61
	v_fma_f32 v37, v57, 2.0, -v35
	v_fma_f32 v38, v58, 2.0, -v36
	v_lshl_add_u32 v39, v39, 3, 0
	ds_write2_b64 v39, v[37:38], v[35:36] offset1:4
	v_mul_f32_e32 v35, v14, v34
	v_mul_f32_e32 v34, v13, v34
	v_fma_f32 v35, v13, v33, -v35
	v_fmac_f32_e32 v34, v14, v33
	v_sub_f32_e32 v13, v59, v35
	v_sub_f32_e32 v14, v60, v34
	v_and_or_b32 v35, v70, s4, v61
	v_fma_f32 v33, v59, 2.0, -v13
	v_fma_f32 v34, v60, 2.0, -v14
	v_lshl_add_u32 v35, v35, 3, 0
	v_and_b32_e32 v61, 7, v0
	ds_write2_b64 v35, v[33:34], v[13:14] offset1:4
	v_lshlrev_b32_e32 v13, 3, v61
	s_waitcnt lgkmcnt(0)
	; wave barrier
	s_waitcnt lgkmcnt(0)
	global_load_dwordx2 v[13:14], v13, s[8:9] offset:48
	ds_read2_b64 v[33:36], v17 offset0:136 offset1:192
	s_movk_i32 s4, 0xf0
	s_movk_i32 s5, 0x2f0
	s_waitcnt vmcnt(0) lgkmcnt(0)
	v_mul_f32_e32 v37, v14, v34
	v_fma_f32 v39, v13, v33, -v37
	ds_read_b64 v[37:38], v19
	v_mul_f32_e32 v40, v14, v33
	v_fmac_f32_e32 v40, v13, v34
	ds_read_b64 v[33:34], v19 offset:5824
	ds_read_b64 v[45:46], v30
	ds_read_b64 v[47:48], v16
	s_waitcnt lgkmcnt(3)
	v_sub_f32_e32 v49, v37, v39
	v_sub_f32_e32 v50, v38, v40
	v_fma_f32 v51, v37, 2.0, -v49
	v_fma_f32 v52, v38, 2.0, -v50
	ds_read_b64 v[53:54], v62
	ds_read_b64 v[55:56], v32
	;; [unrolled: 1-line block ×4, first 2 shown]
	ds_read2_b64 v[37:40], v18 offset0:120 offset1:176
	ds_read2_b64 v[41:44], v29 offset0:104 offset1:160
	v_and_or_b32 v62, v64, s10, v61
	v_lshl_add_u32 v62, v62, 3, 0
	s_waitcnt lgkmcnt(0)
	; wave barrier
	s_waitcnt lgkmcnt(0)
	ds_write2_b64 v62, v[51:52], v[49:50] offset1:8
	v_mul_f32_e32 v49, v14, v36
	v_mul_f32_e32 v50, v14, v35
	v_fma_f32 v49, v13, v35, -v49
	v_fmac_f32_e32 v50, v13, v36
	v_sub_f32_e32 v35, v47, v49
	v_sub_f32_e32 v36, v48, v50
	v_and_or_b32 v49, v65, s4, v61
	v_fma_f32 v47, v47, 2.0, -v35
	v_fma_f32 v48, v48, 2.0, -v36
	v_lshl_add_u32 v49, v49, 3, 0
	ds_write2_b64 v49, v[47:48], v[35:36] offset1:8
	v_mul_f32_e32 v35, v14, v38
	v_fma_f32 v35, v13, v37, -v35
	v_mul_f32_e32 v36, v14, v37
	v_fmac_f32_e32 v36, v13, v38
	v_sub_f32_e32 v35, v45, v35
	s_movk_i32 s4, 0x1f0
	v_sub_f32_e32 v36, v46, v36
	v_fma_f32 v37, v45, 2.0, -v35
	v_and_or_b32 v45, v66, s4, v61
	v_fma_f32 v38, v46, 2.0, -v36
	v_lshl_add_u32 v45, v45, 3, 0
	ds_write2_b64 v45, v[37:38], v[35:36] offset1:8
	v_mul_f32_e32 v35, v14, v40
	v_mul_f32_e32 v36, v14, v39
	v_fma_f32 v35, v13, v39, -v35
	v_fmac_f32_e32 v36, v13, v40
	v_sub_f32_e32 v35, v53, v35
	v_sub_f32_e32 v36, v54, v36
	v_and_or_b32 v39, v67, s4, v61
	v_fma_f32 v37, v53, 2.0, -v35
	v_fma_f32 v38, v54, 2.0, -v36
	v_lshl_add_u32 v39, v39, 3, 0
	ds_write2_b64 v39, v[37:38], v[35:36] offset1:8
	v_mul_f32_e32 v35, v14, v42
	v_mul_f32_e32 v36, v14, v41
	v_fma_f32 v35, v13, v41, -v35
	v_fmac_f32_e32 v36, v13, v42
	s_movk_i32 s4, 0x3f0
	v_sub_f32_e32 v35, v59, v35
	v_sub_f32_e32 v36, v60, v36
	v_and_or_b32 v39, v68, s4, v61
	v_fma_f32 v37, v59, 2.0, -v35
	v_fma_f32 v38, v60, 2.0, -v36
	v_lshl_add_u32 v39, v39, 3, 0
	ds_write2_b64 v39, v[37:38], v[35:36] offset1:8
	v_mul_f32_e32 v35, v14, v44
	v_mul_f32_e32 v36, v14, v43
	v_fma_f32 v35, v13, v43, -v35
	v_fmac_f32_e32 v36, v13, v44
	v_sub_f32_e32 v35, v57, v35
	v_sub_f32_e32 v36, v58, v36
	v_and_or_b32 v39, v69, s5, v61
	v_fma_f32 v37, v57, 2.0, -v35
	v_fma_f32 v38, v58, 2.0, -v36
	v_lshl_add_u32 v39, v39, 3, 0
	ds_write2_b64 v39, v[37:38], v[35:36] offset1:8
	v_mul_f32_e32 v35, v14, v34
	v_mul_f32_e32 v34, v13, v34
	v_fma_f32 v35, v13, v33, -v35
	v_fmac_f32_e32 v34, v14, v33
	v_sub_f32_e32 v13, v55, v35
	v_sub_f32_e32 v14, v56, v34
	v_and_or_b32 v35, v70, s4, v61
	v_fma_f32 v33, v55, 2.0, -v13
	v_fma_f32 v34, v56, 2.0, -v14
	v_lshl_add_u32 v35, v35, 3, 0
	ds_write2_b64 v35, v[33:34], v[13:14] offset1:8
	v_and_b32_e32 v14, 15, v0
	v_mul_u32_u24_e32 v13, 6, v14
	v_lshlrev_b32_e32 v57, 3, v13
	s_waitcnt lgkmcnt(0)
	; wave barrier
	s_waitcnt lgkmcnt(0)
	global_load_dwordx4 v[33:36], v57, s[8:9] offset:144
	v_and_b32_e32 v13, 15, v2
	v_mul_u32_u24_e32 v37, 6, v13
	v_lshlrev_b32_e32 v58, 3, v37
	global_load_dwordx4 v[37:40], v58, s[8:9] offset:144
	global_load_dwordx4 v[41:44], v57, s[8:9] offset:112
	;; [unrolled: 1-line block ×5, first 2 shown]
	ds_read2_b64 v[57:60], v29 offset0:48 offset1:104
	ds_read2_b64 v[61:64], v29 offset0:160 offset1:216
	s_mov_b32 s4, 0x3f5ff5aa
	s_mov_b32 s5, 0xbf3bfb3b
	s_waitcnt vmcnt(5) lgkmcnt(1)
	v_mul_f32_e32 v65, v34, v58
	v_mul_f32_e32 v66, v34, v57
	v_fma_f32 v65, v33, v57, -v65
	v_fmac_f32_e32 v66, v33, v58
	s_waitcnt lgkmcnt(0)
	v_mul_f32_e32 v33, v62, v36
	v_fma_f32 v67, v61, v35, -v33
	v_mul_f32_e32 v61, v61, v36
	s_waitcnt vmcnt(4)
	v_mul_f32_e32 v33, v60, v38
	v_fmac_f32_e32 v61, v62, v35
	v_fma_f32 v62, v59, v37, -v33
	v_mul_f32_e32 v59, v59, v38
	v_mul_f32_e32 v33, v64, v40
	v_fmac_f32_e32 v59, v60, v37
	v_fma_f32 v60, v63, v39, -v33
	ds_read_b64 v[33:34], v30
	ds_read_b64 v[35:36], v31
	;; [unrolled: 1-line block ×4, first 2 shown]
	v_mul_f32_e32 v63, v63, v40
	v_fmac_f32_e32 v63, v64, v39
	s_waitcnt vmcnt(3) lgkmcnt(3)
	v_mul_f32_e32 v39, v42, v34
	v_fma_f32 v64, v41, v33, -v39
	v_mul_f32_e32 v42, v42, v33
	s_waitcnt lgkmcnt(2)
	v_mul_f32_e32 v33, v44, v36
	v_mul_f32_e32 v44, v44, v35
	v_fmac_f32_e32 v42, v41, v34
	v_fma_f32 v41, v43, v35, -v33
	v_fmac_f32_e32 v44, v43, v36
	ds_read2_b64 v[33:36], v17 offset0:192 offset1:248
	s_waitcnt vmcnt(2) lgkmcnt(2)
	v_mul_f32_e32 v39, v46, v38
	v_fma_f32 v43, v45, v37, -v39
	v_mul_f32_e32 v46, v46, v37
	v_fmac_f32_e32 v46, v45, v38
	s_waitcnt lgkmcnt(0)
	v_mul_f32_e32 v37, v48, v34
	v_fma_f32 v45, v47, v33, -v37
	ds_read2_b64 v[37:40], v17 offset0:24 offset1:136
	v_mul_f32_e32 v48, v48, v33
	s_waitcnt vmcnt(1)
	v_mul_f32_e32 v33, v36, v52
	v_fmac_f32_e32 v48, v47, v34
	v_fma_f32 v47, v35, v51, -v33
	v_mul_f32_e32 v52, v35, v52
	s_waitcnt lgkmcnt(0)
	v_mul_f32_e32 v33, v40, v50
	v_fmac_f32_e32 v52, v36, v51
	v_fma_f32 v51, v39, v49, -v33
	ds_read2_b64 v[33:36], v19 offset1:168
	v_mul_f32_e32 v39, v39, v50
	v_fmac_f32_e32 v39, v40, v49
	s_waitcnt vmcnt(0)
	v_mul_f32_e32 v40, v38, v56
	v_fma_f32 v40, v37, v55, -v40
	v_mul_f32_e32 v37, v37, v56
	v_fmac_f32_e32 v37, v38, v55
	s_waitcnt lgkmcnt(0)
	v_mul_f32_e32 v38, v36, v54
	v_mul_f32_e32 v49, v35, v54
	v_fma_f32 v38, v35, v53, -v38
	v_fmac_f32_e32 v49, v36, v53
	v_add_f32_e32 v35, v64, v67
	v_add_f32_e32 v36, v41, v65
	;; [unrolled: 1-line block ×9, first 2 shown]
	v_sub_f32_e32 v41, v41, v65
	v_sub_f32_e32 v44, v44, v66
	;; [unrolled: 1-line block ×4, first 2 shown]
	v_add_f32_e32 v68, v56, v68
	v_add_f32_e32 v33, v53, v33
	v_sub_f32_e32 v64, v64, v67
	v_sub_f32_e32 v42, v42, v61
	;; [unrolled: 1-line block ×8, first 2 shown]
	v_add_f32_e32 v55, v43, v41
	v_add_f32_e32 v61, v45, v44
	;; [unrolled: 1-line block ×3, first 2 shown]
	v_sub_f32_e32 v56, v43, v41
	v_sub_f32_e32 v43, v64, v43
	;; [unrolled: 1-line block ×3, first 2 shown]
	v_add_f32_e32 v55, v55, v64
	v_sub_f32_e32 v64, v45, v44
	v_sub_f32_e32 v45, v42, v45
	;; [unrolled: 1-line block ×3, first 2 shown]
	v_add_f32_e32 v42, v61, v42
	v_mov_b32_e32 v61, v33
	v_lshrrev_b32_e32 v65, 4, v0
	v_fmac_f32_e32 v61, 0xbf955555, v53
	v_mov_b32_e32 v53, v34
	v_mul_u32_u24_e32 v65, 0x70, v65
	v_mul_f32_e32 v35, 0x3f4a47b2, v35
	v_mul_f32_e32 v36, 0x3f4a47b2, v36
	;; [unrolled: 1-line block ×4, first 2 shown]
	v_fmac_f32_e32 v53, 0xbf955555, v68
	v_or_b32_e32 v14, v65, v14
	v_fma_f32 v65, v46, s5, -v35
	v_fmac_f32_e32 v35, 0x3d64c772, v48
	v_fma_f32 v66, v50, s5, -v36
	v_fmac_f32_e32 v36, 0x3d64c772, v54
	;; [unrolled: 2-line block ×4, first 2 shown]
	v_add_f32_e32 v69, v35, v61
	v_add_f32_e32 v70, v36, v53
	v_fmac_f32_e32 v56, 0x3ee1c552, v55
	v_fmac_f32_e32 v64, 0x3ee1c552, v42
	v_add_f32_e32 v35, v64, v69
	v_sub_f32_e32 v36, v70, v56
	v_lshl_add_u32 v14, v14, 3, 0
	s_waitcnt lgkmcnt(0)
	; wave barrier
	ds_write2_b64 v14, v[33:34], v[35:36] offset1:16
	v_mul_f32_e32 v35, 0x3f5ff5aa, v41
	v_mul_f32_e32 v33, 0x3d64c772, v48
	;; [unrolled: 1-line block ×3, first 2 shown]
	v_fma_f32 v41, v43, s6, -v35
	v_mul_f32_e32 v35, 0x3f5ff5aa, v44
	v_fma_f32 v33, v46, s7, -v33
	v_fma_f32 v34, v50, s7, -v34
	;; [unrolled: 1-line block ×3, first 2 shown]
	v_add_f32_e32 v44, v33, v61
	v_add_f32_e32 v45, v65, v61
	;; [unrolled: 1-line block ×4, first 2 shown]
	v_fmac_f32_e32 v67, 0x3ee1c552, v55
	v_fmac_f32_e32 v41, 0x3ee1c552, v55
	;; [unrolled: 1-line block ×4, first 2 shown]
	v_add_f32_e32 v33, v43, v45
	v_sub_f32_e32 v34, v48, v41
	v_sub_f32_e32 v35, v44, v68
	v_add_f32_e32 v36, v67, v46
	ds_write2_b64 v14, v[33:34], v[35:36] offset0:32 offset1:48
	v_add_f32_e32 v33, v68, v44
	v_sub_f32_e32 v34, v46, v67
	v_sub_f32_e32 v35, v45, v43
	v_add_f32_e32 v36, v41, v48
	ds_write2_b64 v14, v[33:34], v[35:36] offset0:64 offset1:80
	v_sub_f32_e32 v33, v69, v64
	v_add_f32_e32 v34, v56, v70
	ds_write_b64 v14, v[33:34] offset:768
	v_add_f32_e32 v14, v38, v60
	v_add_f32_e32 v35, v40, v62
	;; [unrolled: 1-line block ×9, first 2 shown]
	v_sub_f32_e32 v40, v40, v62
	v_sub_f32_e32 v47, v47, v51
	v_lshrrev_b32_e32 v51, 4, v2
	v_add_f32_e32 v45, v44, v33
	v_sub_f32_e32 v38, v38, v60
	v_sub_f32_e32 v37, v37, v59
	;; [unrolled: 1-line block ×9, first 2 shown]
	v_add_f32_e32 v44, v47, v40
	v_mul_lo_u32 v51, v51, s10
	v_add_f32_e32 v33, v41, v57
	v_sub_f32_e32 v46, v49, v63
	v_sub_f32_e32 v49, v47, v40
	v_sub_f32_e32 v47, v38, v47
	v_sub_f32_e32 v40, v40, v38
	v_add_f32_e32 v38, v44, v38
	v_add_f32_e32 v44, v39, v37
	;; [unrolled: 1-line block ×3, first 2 shown]
	v_sub_f32_e32 v50, v39, v37
	v_sub_f32_e32 v39, v46, v39
	;; [unrolled: 1-line block ×3, first 2 shown]
	v_add_f32_e32 v44, v44, v46
	v_mov_b32_e32 v46, v33
	v_fmac_f32_e32 v46, 0xbf955555, v41
	v_mov_b32_e32 v41, v34
	v_fmac_f32_e32 v41, 0xbf955555, v45
	v_or_b32_e32 v45, v51, v13
	v_mul_f32_e32 v13, 0x3f4a47b2, v14
	v_mul_f32_e32 v14, 0x3f4a47b2, v42
	;; [unrolled: 1-line block ×4, first 2 shown]
	v_fma_f32 v50, v48, s5, -v13
	v_fmac_f32_e32 v13, 0x3d64c772, v35
	v_fma_f32 v51, v36, s5, -v14
	v_fmac_f32_e32 v14, 0x3d64c772, v43
	;; [unrolled: 2-line block ×4, first 2 shown]
	v_add_f32_e32 v54, v13, v46
	v_add_f32_e32 v55, v14, v41
	v_fmac_f32_e32 v42, 0x3ee1c552, v38
	v_fmac_f32_e32 v49, 0x3ee1c552, v44
	v_add_f32_e32 v13, v49, v54
	v_sub_f32_e32 v14, v55, v42
	v_lshl_add_u32 v45, v45, 3, 0
	ds_write2_b64 v45, v[33:34], v[13:14] offset1:16
	v_mul_f32_e32 v33, 0x3f5ff5aa, v40
	v_mul_f32_e32 v13, 0x3d64c772, v35
	;; [unrolled: 1-line block ×3, first 2 shown]
	v_fma_f32 v35, v47, s6, -v33
	v_mul_f32_e32 v33, 0x3f5ff5aa, v37
	v_fma_f32 v13, v48, s7, -v13
	v_fma_f32 v14, v36, s7, -v14
	;; [unrolled: 1-line block ×3, first 2 shown]
	v_add_f32_e32 v37, v13, v46
	v_add_f32_e32 v39, v50, v46
	;; [unrolled: 1-line block ×4, first 2 shown]
	v_fmac_f32_e32 v52, 0x3ee1c552, v38
	v_fmac_f32_e32 v35, 0x3ee1c552, v38
	v_fmac_f32_e32 v53, 0x3ee1c552, v44
	v_fmac_f32_e32 v36, 0x3ee1c552, v44
	v_add_f32_e32 v13, v36, v39
	v_sub_f32_e32 v14, v41, v35
	v_sub_f32_e32 v33, v37, v53
	v_add_f32_e32 v34, v52, v40
	ds_write2_b64 v45, v[13:14], v[33:34] offset0:32 offset1:48
	v_add_f32_e32 v13, v53, v37
	v_sub_f32_e32 v14, v40, v52
	v_sub_f32_e32 v33, v39, v36
	v_add_f32_e32 v34, v35, v41
	ds_write2_b64 v45, v[13:14], v[33:34] offset0:64 offset1:80
	v_sub_f32_e32 v13, v54, v49
	v_add_f32_e32 v14, v42, v55
	ds_write_b64 v45, v[13:14] offset:768
	v_mul_u32_u24_e32 v13, 6, v0
	v_lshlrev_b32_e32 v59, 3, v13
	s_waitcnt lgkmcnt(0)
	; wave barrier
	s_waitcnt lgkmcnt(0)
	global_load_dwordx4 v[33:36], v59, s[8:9] offset:912
	v_mul_i32_i24_e32 v13, 6, v2
	v_mov_b32_e32 v14, 0
	v_lshlrev_b64 v[37:38], 3, v[13:14]
	v_mov_b32_e32 v39, s9
	v_add_co_u32_e32 v57, vcc, s8, v37
	v_addc_co_u32_e32 v58, vcc, v39, v38, vcc
	global_load_dwordx4 v[37:40], v[57:58], off offset:912
	global_load_dwordx4 v[41:44], v59, s[8:9] offset:880
	global_load_dwordx4 v[45:48], v59, s[8:9] offset:896
	global_load_dwordx4 v[49:52], v[57:58], off offset:896
	global_load_dwordx4 v[53:56], v[57:58], off offset:880
	ds_read2_b64 v[57:60], v29 offset0:48 offset1:104
	ds_read2_b64 v[61:64], v29 offset0:160 offset1:216
	v_cmp_ne_u32_e32 vcc, 0, v0
	s_waitcnt vmcnt(5) lgkmcnt(1)
	v_mul_f32_e32 v13, v34, v58
	v_fma_f32 v13, v33, v57, -v13
	v_mul_f32_e32 v57, v34, v57
	s_waitcnt lgkmcnt(0)
	v_mul_f32_e32 v29, v62, v36
	v_fmac_f32_e32 v57, v33, v58
	v_fma_f32 v58, v61, v35, -v29
	v_mul_f32_e32 v61, v61, v36
	s_waitcnt vmcnt(4)
	v_mul_f32_e32 v29, v60, v38
	v_fmac_f32_e32 v61, v62, v35
	v_fma_f32 v62, v59, v37, -v29
	v_mul_f32_e32 v59, v59, v38
	v_mul_f32_e32 v29, v64, v40
	v_fmac_f32_e32 v59, v60, v37
	v_fma_f32 v60, v63, v39, -v29
	ds_read_b64 v[29:30], v30
	ds_read_b64 v[33:34], v31
	ds_read_b64 v[35:36], v32
	ds_read_b64 v[37:38], v16
	v_mul_f32_e32 v40, v63, v40
	v_fmac_f32_e32 v40, v64, v39
	s_waitcnt vmcnt(3) lgkmcnt(3)
	v_mul_f32_e32 v31, v42, v30
	v_fma_f32 v39, v41, v29, -v31
	v_mul_f32_e32 v42, v42, v29
	s_waitcnt lgkmcnt(2)
	v_mul_f32_e32 v29, v44, v34
	v_fmac_f32_e32 v42, v41, v30
	v_fma_f32 v41, v43, v33, -v29
	ds_read2_b64 v[29:32], v17 offset0:192 offset1:248
	v_mul_f32_e32 v44, v44, v33
	s_waitcnt vmcnt(2) lgkmcnt(2)
	v_mul_f32_e32 v33, v46, v36
	v_fmac_f32_e32 v44, v43, v34
	v_fma_f32 v43, v45, v35, -v33
	v_mul_f32_e32 v46, v46, v35
	s_waitcnt lgkmcnt(0)
	v_mul_f32_e32 v33, v48, v30
	v_fmac_f32_e32 v46, v45, v36
	v_fma_f32 v45, v47, v29, -v33
	ds_read2_b64 v[33:36], v17 offset0:24 offset1:136
	v_mul_f32_e32 v48, v48, v29
	s_waitcnt vmcnt(1)
	v_mul_f32_e32 v17, v32, v52
	v_mul_f32_e32 v52, v31, v52
	v_fmac_f32_e32 v48, v47, v30
	v_fma_f32 v47, v31, v51, -v17
	v_fmac_f32_e32 v52, v32, v51
	ds_read2_b64 v[29:32], v19 offset1:168
	s_waitcnt lgkmcnt(1)
	v_mul_f32_e32 v17, v36, v50
	v_fma_f32 v51, v35, v49, -v17
	v_mul_f32_e32 v35, v35, v50
	s_waitcnt vmcnt(0)
	v_mul_f32_e32 v17, v34, v56
	v_fmac_f32_e32 v35, v36, v49
	v_fma_f32 v36, v33, v55, -v17
	v_mul_f32_e32 v49, v33, v56
	s_waitcnt lgkmcnt(0)
	v_mul_f32_e32 v17, v32, v54
	v_mul_f32_e32 v54, v31, v54
	v_fmac_f32_e32 v49, v34, v55
	v_fma_f32 v50, v31, v53, -v17
	v_fmac_f32_e32 v54, v32, v53
	v_add_f32_e32 v34, v42, v61
	v_add_f32_e32 v53, v44, v57
	;; [unrolled: 1-line block ×11, first 2 shown]
	v_sub_f32_e32 v13, v41, v13
	v_sub_f32_e32 v43, v45, v43
	v_add_f32_e32 v29, v33, v29
	v_sub_f32_e32 v39, v39, v58
	v_sub_f32_e32 v42, v42, v61
	;; [unrolled: 1-line block ×9, first 2 shown]
	v_add_f32_e32 v34, v43, v13
	v_mov_b32_e32 v58, v30
	v_sub_f32_e32 v48, v55, v53
	v_sub_f32_e32 v53, v43, v13
	;; [unrolled: 1-line block ×4, first 2 shown]
	v_add_f32_e32 v39, v34, v39
	v_add_f32_e32 v34, v44, v41
	v_sub_f32_e32 v55, v44, v41
	v_sub_f32_e32 v41, v41, v42
	v_mov_b32_e32 v57, v29
	v_fmac_f32_e32 v58, 0xbf955555, v56
	v_mul_f32_e32 v17, 0x3f4a47b2, v17
	v_mul_f32_e32 v56, 0x3f4a47b2, v32
	;; [unrolled: 1-line block ×3, first 2 shown]
	v_sub_f32_e32 v44, v42, v44
	v_add_f32_e32 v42, v34, v42
	v_fmac_f32_e32 v57, 0xbf955555, v33
	v_mul_f32_e32 v53, 0xbf08b237, v53
	v_mul_f32_e32 v55, 0xbf08b237, v55
	v_fma_f32 v32, v45, s7, -v32
	v_mul_f32_e32 v33, 0x3d64c772, v48
	v_fma_f32 v34, v45, s5, -v17
	v_mul_f32_e32 v45, 0x3f5ff5aa, v13
	v_mul_f32_e32 v61, 0x3f5ff5aa, v41
	v_fma_f32 v33, v31, s7, -v33
	v_fma_f32 v31, v31, s5, -v56
	;; [unrolled: 1-line block ×6, first 2 shown]
	v_add_f32_e32 v63, v32, v57
	v_add_f32_e32 v64, v33, v58
	;; [unrolled: 1-line block ×4, first 2 shown]
	v_fmac_f32_e32 v13, 0x3ee1c552, v39
	v_fmac_f32_e32 v41, 0x3ee1c552, v42
	;; [unrolled: 1-line block ×4, first 2 shown]
	v_add_f32_e32 v31, v61, v65
	v_sub_f32_e32 v32, v66, v45
	v_sub_f32_e32 v33, v63, v41
	v_add_f32_e32 v34, v13, v64
	v_fmac_f32_e32 v17, 0x3d64c772, v46
	v_fmac_f32_e32 v56, 0x3d64c772, v48
	v_fmac_f32_e32 v53, 0x3eae86e6, v43
	v_fmac_f32_e32 v55, 0x3eae86e6, v44
	s_waitcnt lgkmcnt(0)
	; wave barrier
	ds_write2_b64 v15, v[31:32], v[33:34] offset0:96 offset1:208
	v_add_f32_e32 v31, v41, v63
	v_sub_f32_e32 v32, v64, v13
	v_sub_f32_e32 v33, v65, v61
	v_add_f32_e32 v34, v45, v66
	v_add_f32_e32 v13, v17, v57
	;; [unrolled: 1-line block ×3, first 2 shown]
	v_fmac_f32_e32 v53, 0x3ee1c552, v39
	v_fmac_f32_e32 v55, 0x3ee1c552, v42
	ds_write2_b64 v18, v[31:32], v[33:34] offset0:64 offset1:176
	v_add_f32_e32 v17, v55, v13
	v_sub_f32_e32 v18, v15, v53
	ds_write2_b64 v19, v[29:30], v[17:18] offset1:112
	v_sub_f32_e32 v17, v13, v55
	v_add_f32_e32 v18, v53, v15
	v_add_f32_e32 v13, v50, v60
	;; [unrolled: 1-line block ×12, first 2 shown]
	v_sub_f32_e32 v36, v36, v62
	v_sub_f32_e32 v38, v47, v51
	v_add_f32_e32 v29, v32, v37
	ds_write_b64 v19, v[17:18] offset:5376
	v_sub_f32_e32 v17, v50, v60
	v_sub_f32_e32 v18, v54, v40
	;; [unrolled: 1-line block ×10, first 2 shown]
	v_add_f32_e32 v39, v38, v36
	v_sub_f32_e32 v42, v38, v36
	v_sub_f32_e32 v38, v17, v38
	;; [unrolled: 1-line block ×3, first 2 shown]
	v_add_f32_e32 v39, v39, v17
	v_add_f32_e32 v17, v35, v37
	v_sub_f32_e32 v43, v35, v37
	v_sub_f32_e32 v37, v37, v18
	v_add_f32_e32 v44, v17, v18
	v_mov_b32_e32 v45, v29
	v_mov_b32_e32 v46, v30
	v_mul_f32_e32 v13, 0x3f4a47b2, v13
	v_mul_f32_e32 v17, 0x3d64c772, v15
	v_sub_f32_e32 v35, v18, v35
	v_fmac_f32_e32 v45, 0xbf955555, v32
	v_fmac_f32_e32 v46, 0xbf955555, v41
	v_mul_f32_e32 v33, 0x3f4a47b2, v33
	v_mul_f32_e32 v41, 0xbf08b237, v42
	;; [unrolled: 1-line block ×3, first 2 shown]
	v_fma_f32 v17, v40, s7, -v17
	v_mul_f32_e32 v18, 0x3d64c772, v34
	v_fma_f32 v32, v40, s5, -v13
	v_mul_f32_e32 v40, 0x3f5ff5aa, v36
	v_mul_f32_e32 v43, 0x3f5ff5aa, v37
	v_fma_f32 v18, v31, s7, -v18
	v_fma_f32 v31, v31, s5, -v33
	;; [unrolled: 1-line block ×6, first 2 shown]
	v_add_f32_e32 v47, v17, v45
	v_add_f32_e32 v48, v18, v46
	;; [unrolled: 1-line block ×4, first 2 shown]
	v_fmac_f32_e32 v36, 0x3ee1c552, v39
	v_fmac_f32_e32 v37, 0x3ee1c552, v44
	;; [unrolled: 1-line block ×4, first 2 shown]
	v_add_f32_e32 v17, v43, v49
	v_sub_f32_e32 v18, v50, v40
	v_sub_f32_e32 v31, v47, v37
	v_add_f32_e32 v32, v36, v48
	v_add_u32_e32 v51, 0x400, v16
	v_fmac_f32_e32 v13, 0x3d64c772, v15
	v_fmac_f32_e32 v33, 0x3d64c772, v34
	;; [unrolled: 1-line block ×4, first 2 shown]
	ds_write2_b64 v51, v[17:18], v[31:32] offset0:96 offset1:208
	v_add_f32_e32 v17, v37, v47
	v_sub_f32_e32 v18, v48, v36
	v_sub_f32_e32 v31, v49, v43
	v_add_f32_e32 v32, v40, v50
	v_add_u32_e32 v36, 0xc00, v16
	v_add_f32_e32 v13, v13, v45
	v_add_f32_e32 v15, v33, v46
	v_fmac_f32_e32 v41, 0x3ee1c552, v39
	v_fmac_f32_e32 v42, 0x3ee1c552, v44
	ds_write2_b64 v36, v[17:18], v[31:32] offset0:64 offset1:176
	v_add_f32_e32 v17, v42, v13
	v_sub_f32_e32 v18, v15, v41
	ds_write2_b64 v16, v[29:30], v[17:18] offset1:112
	v_sub_f32_e32 v17, v13, v42
	v_add_f32_e32 v18, v41, v15
	ds_write_b64 v16, v[17:18] offset:5376
	s_waitcnt lgkmcnt(0)
	; wave barrier
	s_waitcnt lgkmcnt(0)
	ds_read_b64 v[17:18], v19
	s_add_u32 s6, s8, 0x1870
	s_addc_u32 s7, s9, 0
	v_sub_u32_e32 v29, 0, v1
                                        ; implicit-def: $vgpr32
                                        ; implicit-def: $vgpr31
                                        ; implicit-def: $vgpr15
	s_and_saveexec_b64 s[4:5], vcc
	s_xor_b64 s[4:5], exec, s[4:5]
	s_cbranch_execz .LBB0_15
; %bb.14:
	v_mov_b32_e32 v1, v14
	v_lshlrev_b64 v[13:14], 3, v[0:1]
	v_mov_b32_e32 v1, s7
	v_add_co_u32_e32 v13, vcc, s6, v13
	v_addc_co_u32_e32 v14, vcc, v1, v14, vcc
	global_load_dwordx2 v[13:14], v[13:14], off
	ds_read_b64 v[15:16], v29 offset:6272
	s_waitcnt lgkmcnt(0)
	v_add_f32_e32 v1, v15, v17
	v_sub_f32_e32 v15, v17, v15
	v_add_f32_e32 v30, v16, v18
	v_sub_f32_e32 v16, v18, v16
	v_mul_f32_e32 v18, 0.5, v15
	v_mul_f32_e32 v17, 0.5, v30
	v_mul_f32_e32 v15, 0.5, v16
	s_waitcnt vmcnt(0)
	v_mul_f32_e32 v16, v14, v18
	v_fma_f32 v30, v17, v14, v15
	v_fma_f32 v14, v17, v14, -v15
	v_fma_f32 v32, 0.5, v1, v16
	v_fma_f32 v1, v1, 0.5, -v16
	v_fma_f32 v31, -v13, v18, v30
	v_fmac_f32_e32 v32, v13, v17
	v_fma_f32 v15, -v13, v17, v1
	v_fma_f32 v16, -v13, v18, v14
                                        ; implicit-def: $vgpr17_vgpr18
.LBB0_15:
	s_or_saveexec_b64 s[4:5], s[4:5]
	v_sub_u32_e32 v33, 0, v28
	v_sub_u32_e32 v28, 0, v3
	;; [unrolled: 1-line block ×6, first 2 shown]
	s_xor_b64 exec, exec, s[4:5]
	s_cbranch_execz .LBB0_17
; %bb.16:
	v_mov_b32_e32 v31, 0
	ds_read_b32 v3, v31 offset:3140
	s_waitcnt lgkmcnt(1)
	v_add_f32_e32 v32, v17, v18
	v_sub_f32_e32 v15, v17, v18
	v_mov_b32_e32 v16, 0
	s_waitcnt lgkmcnt(0)
	v_xor_b32_e32 v3, 0x80000000, v3
	ds_write_b32 v31, v3 offset:3140
.LBB0_17:
	s_or_b64 exec, exec, s[4:5]
	v_mov_b32_e32 v3, 0
	s_waitcnt lgkmcnt(0)
	v_lshlrev_b64 v[17:18], 3, v[2:3]
	v_mov_b32_e32 v2, s7
	v_add_co_u32_e32 v17, vcc, s6, v17
	v_addc_co_u32_e32 v18, vcc, v2, v18, vcc
	global_load_dwordx2 v[17:18], v[17:18], off
	v_mov_b32_e32 v13, v3
	v_lshlrev_b64 v[12:13], 3, v[12:13]
	v_add_u32_e32 v28, v7, v28
	v_add_co_u32_e32 v12, vcc, s6, v12
	v_addc_co_u32_e32 v13, vcc, v2, v13, vcc
	global_load_dwordx2 v[26:27], v[12:13], off
	v_mov_b32_e32 v12, v3
	v_lshlrev_b64 v[11:12], 3, v[11:12]
	v_mov_b32_e32 v13, s7
	v_add_co_u32_e32 v11, vcc, s6, v11
	ds_write2_b32 v19, v32, v31 offset1:1
	ds_write_b64 v29, v[15:16] offset:6272
	v_addc_co_u32_e32 v12, vcc, v13, v12, vcc
	global_load_dwordx2 v[12:13], v[11:12], off
	v_mov_b32_e32 v7, v3
	v_lshlrev_b64 v[6:7], 3, v[6:7]
	v_mov_b32_e32 v31, s7
	v_add_co_u32_e32 v6, vcc, s6, v6
	v_add_u32_e32 v2, v23, v33
	v_addc_co_u32_e32 v7, vcc, v31, v7, vcc
	ds_read_b64 v[15:16], v2
	ds_read_b64 v[23:24], v29 offset:5824
	global_load_dwordx2 v[6:7], v[6:7], off
	v_add_u32_e32 v30, v9, v30
	v_mov_b32_e32 v9, v3
	v_lshlrev_b64 v[8:9], 3, v[8:9]
	s_waitcnt lgkmcnt(0)
	v_add_f32_e32 v31, v15, v23
	v_add_f32_e32 v34, v16, v24
	v_sub_f32_e32 v15, v15, v23
	v_sub_f32_e32 v16, v16, v24
	v_mul_f32_e32 v23, 0.5, v34
	v_mul_f32_e32 v15, 0.5, v15
	;; [unrolled: 1-line block ×3, first 2 shown]
	v_mov_b32_e32 v32, s7
	v_add_co_u32_e32 v8, vcc, s6, v8
	v_addc_co_u32_e32 v9, vcc, v32, v9, vcc
	v_mov_b32_e32 v11, v3
	v_lshlrev_b64 v[10:11], 3, v[10:11]
	v_mov_b32_e32 v33, s7
	v_add_co_u32_e32 v10, vcc, s6, v10
	v_addc_co_u32_e32 v11, vcc, v33, v11, vcc
	s_waitcnt vmcnt(3)
	v_mul_f32_e32 v24, v18, v15
	v_fma_f32 v34, v23, v18, v16
	v_fma_f32 v16, v23, v18, -v16
	v_fma_f32 v18, 0.5, v31, v24
	v_fma_f32 v34, -v17, v15, v34
	v_fma_f32 v24, v31, 0.5, -v24
	v_fma_f32 v15, -v17, v15, v16
	v_fmac_f32_e32 v18, v17, v23
	ds_write_b32 v2, v34 offset:4
	v_fma_f32 v16, -v17, v23, v24
	ds_write_b32 v29, v15 offset:5828
	ds_write_b32 v2, v18
	ds_write_b32 v29, v16 offset:5824
	ds_read_b64 v[15:16], v28
	ds_read_b64 v[17:18], v29 offset:5376
	global_load_dwordx2 v[8:9], v[8:9], off
	s_waitcnt lgkmcnt(0)
	v_add_f32_e32 v2, v15, v17
	v_add_f32_e32 v23, v16, v18
	v_sub_f32_e32 v15, v15, v17
	v_sub_f32_e32 v16, v16, v18
	v_mul_f32_e32 v17, 0.5, v23
	v_mul_f32_e32 v15, 0.5, v15
	;; [unrolled: 1-line block ×3, first 2 shown]
	s_waitcnt vmcnt(3)
	v_mul_f32_e32 v18, v27, v15
	v_fma_f32 v23, v17, v27, v16
	v_fma_f32 v16, v17, v27, -v16
	v_fma_f32 v24, 0.5, v2, v18
	v_fma_f32 v23, -v26, v15, v23
	v_fma_f32 v2, v2, 0.5, -v18
	v_fma_f32 v15, -v26, v15, v16
	v_fmac_f32_e32 v24, v26, v17
	ds_write_b32 v28, v23 offset:4
	v_fma_f32 v2, -v26, v17, v2
	ds_write_b32 v29, v15 offset:5380
	ds_write_b32 v28, v24
	ds_write_b32 v29, v2 offset:5376
	ds_read_b64 v[15:16], v30
	ds_read_b64 v[17:18], v29 offset:4928
	global_load_dwordx2 v[10:11], v[10:11], off
	s_waitcnt lgkmcnt(0)
	v_add_f32_e32 v2, v15, v17
	v_sub_f32_e32 v15, v15, v17
	v_add_f32_e32 v23, v16, v18
	v_sub_f32_e32 v16, v16, v18
	v_mul_f32_e32 v15, 0.5, v15
	v_mul_f32_e32 v17, 0.5, v23
	v_mul_f32_e32 v16, 0.5, v16
	s_waitcnt vmcnt(3)
	v_mul_f32_e32 v18, v13, v15
	v_fma_f32 v23, 0.5, v2, v18
	v_fma_f32 v24, v17, v13, v16
	v_fma_f32 v2, v2, 0.5, -v18
	v_fma_f32 v13, v17, v13, -v16
	v_fmac_f32_e32 v23, v12, v17
	v_fma_f32 v24, -v12, v15, v24
	v_fma_f32 v2, -v12, v17, v2
	;; [unrolled: 1-line block ×3, first 2 shown]
	ds_write_b32 v30, v24 offset:4
	ds_write_b32 v29, v12 offset:4932
	ds_write_b32 v30, v23
	ds_write_b32 v29, v2 offset:4928
	v_add_u32_e32 v2, v22, v25
	ds_read_b64 v[12:13], v2
	ds_read_b64 v[15:16], v29 offset:4480
	s_waitcnt lgkmcnt(0)
	v_add_f32_e32 v17, v12, v15
	v_sub_f32_e32 v12, v12, v15
	v_add_f32_e32 v18, v13, v16
	v_sub_f32_e32 v13, v13, v16
	v_mul_f32_e32 v12, 0.5, v12
	v_mul_f32_e32 v18, 0.5, v18
	;; [unrolled: 1-line block ×3, first 2 shown]
	s_waitcnt vmcnt(2)
	v_mul_f32_e32 v15, v7, v12
	v_fma_f32 v16, 0.5, v17, v15
	v_fma_f32 v22, v18, v7, v13
	v_fma_f32 v15, v17, 0.5, -v15
	v_fma_f32 v7, v18, v7, -v13
	v_fmac_f32_e32 v16, v6, v18
	v_fma_f32 v22, -v6, v12, v22
	v_fma_f32 v15, -v6, v18, v15
	;; [unrolled: 1-line block ×3, first 2 shown]
	ds_write_b32 v2, v22 offset:4
	ds_write_b32 v29, v6 offset:4484
	ds_write_b32 v2, v16
	ds_write_b32 v29, v15 offset:4480
	v_add_u32_e32 v2, v21, v14
	ds_read_b64 v[6:7], v2
	ds_read_b64 v[12:13], v29 offset:4032
	s_waitcnt lgkmcnt(0)
	v_add_f32_e32 v14, v6, v12
	v_add_f32_e32 v15, v7, v13
	v_sub_f32_e32 v6, v6, v12
	v_sub_f32_e32 v7, v7, v13
	v_mul_f32_e32 v15, 0.5, v15
	v_mul_f32_e32 v6, 0.5, v6
	;; [unrolled: 1-line block ×3, first 2 shown]
	s_waitcnt vmcnt(1)
	v_mul_f32_e32 v12, v9, v6
	v_fma_f32 v16, v15, v9, v7
	v_fma_f32 v7, v15, v9, -v7
	v_fma_f32 v13, 0.5, v14, v12
	v_fma_f32 v16, -v8, v6, v16
	v_fma_f32 v12, v14, 0.5, -v12
	v_fma_f32 v6, -v8, v6, v7
	v_fmac_f32_e32 v13, v8, v15
	ds_write_b32 v2, v16 offset:4
	v_fma_f32 v12, -v8, v15, v12
	ds_write_b32 v29, v6 offset:4036
	ds_write_b32 v2, v13
	ds_write_b32 v29, v12 offset:4032
	v_add_u32_e32 v8, v20, v1
	ds_read_b64 v[1:2], v8
	ds_read_b64 v[6:7], v29 offset:3584
	s_waitcnt lgkmcnt(0)
	v_add_f32_e32 v9, v1, v6
	v_add_f32_e32 v12, v2, v7
	v_sub_f32_e32 v1, v1, v6
	v_sub_f32_e32 v2, v2, v7
	v_mul_f32_e32 v12, 0.5, v12
	v_mul_f32_e32 v1, 0.5, v1
	;; [unrolled: 1-line block ×3, first 2 shown]
	s_waitcnt vmcnt(0)
	v_mul_f32_e32 v6, v11, v1
	v_fma_f32 v13, v12, v11, v2
	v_fma_f32 v2, v12, v11, -v2
	v_fma_f32 v7, 0.5, v9, v6
	v_fma_f32 v13, -v10, v1, v13
	v_fma_f32 v6, v9, 0.5, -v6
	v_fma_f32 v1, -v10, v1, v2
	v_fmac_f32_e32 v7, v10, v12
	ds_write_b32 v8, v13 offset:4
	v_fma_f32 v6, -v10, v12, v6
	ds_write_b32 v29, v1 offset:3588
	ds_write_b32 v8, v7
	ds_write_b32 v29, v6 offset:3584
	s_waitcnt lgkmcnt(0)
	; wave barrier
	s_waitcnt lgkmcnt(0)
	s_and_saveexec_b64 s[4:5], s[0:1]
	s_cbranch_execz .LBB0_20
; %bb.18:
	v_mov_b32_e32 v1, v3
	ds_read2_b64 v[6:9], v19 offset1:56
	v_mov_b32_e32 v2, s3
	v_add_co_u32_e32 v3, vcc, s2, v4
	v_addc_co_u32_e32 v2, vcc, v2, v5, vcc
	v_lshlrev_b64 v[4:5], 3, v[0:1]
	ds_read2_b64 v[10:13], v19 offset0:112 offset1:168
	v_add_co_u32_e32 v16, vcc, v3, v4
	v_addc_co_u32_e32 v17, vcc, v2, v5, vcc
	s_waitcnt lgkmcnt(1)
	global_store_dwordx2 v[16:17], v[6:7], off
	global_store_dwordx2 v[16:17], v[8:9], off offset:448
	s_waitcnt lgkmcnt(0)
	global_store_dwordx2 v[16:17], v[10:11], off offset:896
	v_add_u32_e32 v1, 0x400, v19
	ds_read2_b64 v[4:7], v1 offset0:96 offset1:152
	v_add_u32_e32 v1, 0x800, v19
	ds_read2_b64 v[8:11], v1 offset0:80 offset1:136
	global_store_dwordx2 v[16:17], v[12:13], off offset:1344
	ds_read2_b64 v[12:15], v1 offset0:192 offset1:248
	s_waitcnt lgkmcnt(2)
	global_store_dwordx2 v[16:17], v[4:5], off offset:1792
	global_store_dwordx2 v[16:17], v[6:7], off offset:2240
	s_waitcnt lgkmcnt(1)
	global_store_dwordx2 v[16:17], v[8:9], off offset:2688
	global_store_dwordx2 v[16:17], v[10:11], off offset:3136
	;; [unrolled: 3-line block ×3, first 2 shown]
	v_add_u32_e32 v1, 0x1000, v19
	ds_read2_b64 v[4:7], v1 offset0:48 offset1:104
	v_add_co_u32_e32 v12, vcc, 0x1000, v16
	ds_read2_b64 v[8:11], v1 offset0:160 offset1:216
	v_addc_co_u32_e32 v13, vcc, 0, v17, vcc
	v_cmp_eq_u32_e32 vcc, 55, v0
	s_waitcnt lgkmcnt(1)
	global_store_dwordx2 v[12:13], v[4:5], off offset:384
	global_store_dwordx2 v[12:13], v[6:7], off offset:832
	s_waitcnt lgkmcnt(0)
	global_store_dwordx2 v[12:13], v[8:9], off offset:1280
	global_store_dwordx2 v[12:13], v[10:11], off offset:1728
	s_and_b64 exec, exec, vcc
	s_cbranch_execz .LBB0_20
; %bb.19:
	v_mov_b32_e32 v0, 0
	ds_read_b64 v[0:1], v0 offset:6272
	v_add_co_u32_e32 v3, vcc, 0x1000, v3
	v_addc_co_u32_e32 v4, vcc, 0, v2, vcc
	s_waitcnt lgkmcnt(0)
	global_store_dwordx2 v[3:4], v[0:1], off offset:2176
.LBB0_20:
	s_endpgm
	.section	.rodata,"a",@progbits
	.p2align	6, 0x0
	.amdhsa_kernel fft_rtc_fwd_len784_factors_2_2_2_2_7_7_wgs_56_tpt_56_halfLds_sp_ip_CI_unitstride_sbrr_R2C_dirReg
		.amdhsa_group_segment_fixed_size 0
		.amdhsa_private_segment_fixed_size 0
		.amdhsa_kernarg_size 88
		.amdhsa_user_sgpr_count 6
		.amdhsa_user_sgpr_private_segment_buffer 1
		.amdhsa_user_sgpr_dispatch_ptr 0
		.amdhsa_user_sgpr_queue_ptr 0
		.amdhsa_user_sgpr_kernarg_segment_ptr 1
		.amdhsa_user_sgpr_dispatch_id 0
		.amdhsa_user_sgpr_flat_scratch_init 0
		.amdhsa_user_sgpr_private_segment_size 0
		.amdhsa_uses_dynamic_stack 0
		.amdhsa_system_sgpr_private_segment_wavefront_offset 0
		.amdhsa_system_sgpr_workgroup_id_x 1
		.amdhsa_system_sgpr_workgroup_id_y 0
		.amdhsa_system_sgpr_workgroup_id_z 0
		.amdhsa_system_sgpr_workgroup_info 0
		.amdhsa_system_vgpr_workitem_id 0
		.amdhsa_next_free_vgpr 72
		.amdhsa_next_free_sgpr 22
		.amdhsa_reserve_vcc 1
		.amdhsa_reserve_flat_scratch 0
		.amdhsa_float_round_mode_32 0
		.amdhsa_float_round_mode_16_64 0
		.amdhsa_float_denorm_mode_32 3
		.amdhsa_float_denorm_mode_16_64 3
		.amdhsa_dx10_clamp 1
		.amdhsa_ieee_mode 1
		.amdhsa_fp16_overflow 0
		.amdhsa_exception_fp_ieee_invalid_op 0
		.amdhsa_exception_fp_denorm_src 0
		.amdhsa_exception_fp_ieee_div_zero 0
		.amdhsa_exception_fp_ieee_overflow 0
		.amdhsa_exception_fp_ieee_underflow 0
		.amdhsa_exception_fp_ieee_inexact 0
		.amdhsa_exception_int_div_zero 0
	.end_amdhsa_kernel
	.text
.Lfunc_end0:
	.size	fft_rtc_fwd_len784_factors_2_2_2_2_7_7_wgs_56_tpt_56_halfLds_sp_ip_CI_unitstride_sbrr_R2C_dirReg, .Lfunc_end0-fft_rtc_fwd_len784_factors_2_2_2_2_7_7_wgs_56_tpt_56_halfLds_sp_ip_CI_unitstride_sbrr_R2C_dirReg
                                        ; -- End function
	.section	.AMDGPU.csdata,"",@progbits
; Kernel info:
; codeLenInByte = 8444
; NumSgprs: 26
; NumVgprs: 72
; ScratchSize: 0
; MemoryBound: 0
; FloatMode: 240
; IeeeMode: 1
; LDSByteSize: 0 bytes/workgroup (compile time only)
; SGPRBlocks: 3
; VGPRBlocks: 17
; NumSGPRsForWavesPerEU: 26
; NumVGPRsForWavesPerEU: 72
; Occupancy: 3
; WaveLimiterHint : 1
; COMPUTE_PGM_RSRC2:SCRATCH_EN: 0
; COMPUTE_PGM_RSRC2:USER_SGPR: 6
; COMPUTE_PGM_RSRC2:TRAP_HANDLER: 0
; COMPUTE_PGM_RSRC2:TGID_X_EN: 1
; COMPUTE_PGM_RSRC2:TGID_Y_EN: 0
; COMPUTE_PGM_RSRC2:TGID_Z_EN: 0
; COMPUTE_PGM_RSRC2:TIDIG_COMP_CNT: 0
	.type	__hip_cuid_db27142b9c796d6a,@object ; @__hip_cuid_db27142b9c796d6a
	.section	.bss,"aw",@nobits
	.globl	__hip_cuid_db27142b9c796d6a
__hip_cuid_db27142b9c796d6a:
	.byte	0                               ; 0x0
	.size	__hip_cuid_db27142b9c796d6a, 1

	.ident	"AMD clang version 19.0.0git (https://github.com/RadeonOpenCompute/llvm-project roc-6.4.0 25133 c7fe45cf4b819c5991fe208aaa96edf142730f1d)"
	.section	".note.GNU-stack","",@progbits
	.addrsig
	.addrsig_sym __hip_cuid_db27142b9c796d6a
	.amdgpu_metadata
---
amdhsa.kernels:
  - .args:
      - .actual_access:  read_only
        .address_space:  global
        .offset:         0
        .size:           8
        .value_kind:     global_buffer
      - .offset:         8
        .size:           8
        .value_kind:     by_value
      - .actual_access:  read_only
        .address_space:  global
        .offset:         16
        .size:           8
        .value_kind:     global_buffer
      - .actual_access:  read_only
        .address_space:  global
        .offset:         24
        .size:           8
        .value_kind:     global_buffer
      - .offset:         32
        .size:           8
        .value_kind:     by_value
      - .actual_access:  read_only
        .address_space:  global
        .offset:         40
        .size:           8
        .value_kind:     global_buffer
      - .actual_access:  read_only
        .address_space:  global
        .offset:         48
        .size:           8
        .value_kind:     global_buffer
      - .offset:         56
        .size:           4
        .value_kind:     by_value
      - .actual_access:  read_only
        .address_space:  global
        .offset:         64
        .size:           8
        .value_kind:     global_buffer
      - .actual_access:  read_only
        .address_space:  global
        .offset:         72
        .size:           8
        .value_kind:     global_buffer
      - .address_space:  global
        .offset:         80
        .size:           8
        .value_kind:     global_buffer
    .group_segment_fixed_size: 0
    .kernarg_segment_align: 8
    .kernarg_segment_size: 88
    .language:       OpenCL C
    .language_version:
      - 2
      - 0
    .max_flat_workgroup_size: 56
    .name:           fft_rtc_fwd_len784_factors_2_2_2_2_7_7_wgs_56_tpt_56_halfLds_sp_ip_CI_unitstride_sbrr_R2C_dirReg
    .private_segment_fixed_size: 0
    .sgpr_count:     26
    .sgpr_spill_count: 0
    .symbol:         fft_rtc_fwd_len784_factors_2_2_2_2_7_7_wgs_56_tpt_56_halfLds_sp_ip_CI_unitstride_sbrr_R2C_dirReg.kd
    .uniform_work_group_size: 1
    .uses_dynamic_stack: false
    .vgpr_count:     72
    .vgpr_spill_count: 0
    .wavefront_size: 64
amdhsa.target:   amdgcn-amd-amdhsa--gfx906
amdhsa.version:
  - 1
  - 2
...

	.end_amdgpu_metadata
